;; amdgpu-corpus repo=ROCm/rocFFT kind=compiled arch=gfx1100 opt=O3
	.text
	.amdgcn_target "amdgcn-amd-amdhsa--gfx1100"
	.amdhsa_code_object_version 6
	.protected	fft_rtc_back_len286_factors_13_11_2_wgs_52_tpt_26_dp_ip_CI_unitstride_sbrr_dirReg ; -- Begin function fft_rtc_back_len286_factors_13_11_2_wgs_52_tpt_26_dp_ip_CI_unitstride_sbrr_dirReg
	.globl	fft_rtc_back_len286_factors_13_11_2_wgs_52_tpt_26_dp_ip_CI_unitstride_sbrr_dirReg
	.p2align	8
	.type	fft_rtc_back_len286_factors_13_11_2_wgs_52_tpt_26_dp_ip_CI_unitstride_sbrr_dirReg,@function
fft_rtc_back_len286_factors_13_11_2_wgs_52_tpt_26_dp_ip_CI_unitstride_sbrr_dirReg: ; @fft_rtc_back_len286_factors_13_11_2_wgs_52_tpt_26_dp_ip_CI_unitstride_sbrr_dirReg
; %bb.0:
	s_clause 0x2
	s_load_b128 s[4:7], s[0:1], 0x0
	s_load_b64 s[8:9], s[0:1], 0x50
	s_load_b64 s[10:11], s[0:1], 0x18
	v_mul_u32_u24_e32 v1, 0x9d9, v0
	v_mov_b32_e32 v3, 0
	v_mov_b32_e32 v4, 0
	s_delay_alu instid0(VALU_DEP_3) | instskip(SKIP_1) | instid1(VALU_DEP_2)
	v_lshrrev_b32_e32 v9, 16, v1
	v_mov_b32_e32 v1, 0
	v_lshl_add_u32 v5, s15, 1, v9
	s_delay_alu instid0(VALU_DEP_2) | instskip(SKIP_2) | instid1(VALU_DEP_1)
	v_mov_b32_e32 v6, v1
	s_waitcnt lgkmcnt(0)
	v_cmp_lt_u64_e64 s2, s[6:7], 2
	s_and_b32 vcc_lo, exec_lo, s2
	s_cbranch_vccnz .LBB0_8
; %bb.1:
	s_load_b64 s[2:3], s[0:1], 0x10
	v_mov_b32_e32 v3, 0
	s_add_u32 s12, s10, 8
	v_mov_b32_e32 v4, 0
	s_addc_u32 s13, s11, 0
	s_mov_b64 s[16:17], 1
	s_waitcnt lgkmcnt(0)
	s_add_u32 s14, s2, 8
	s_addc_u32 s15, s3, 0
.LBB0_2:                                ; =>This Inner Loop Header: Depth=1
	s_load_b64 s[18:19], s[14:15], 0x0
                                        ; implicit-def: $vgpr7_vgpr8
	s_mov_b32 s2, exec_lo
	s_waitcnt lgkmcnt(0)
	v_or_b32_e32 v2, s19, v6
	s_delay_alu instid0(VALU_DEP_1)
	v_cmpx_ne_u64_e32 0, v[1:2]
	s_xor_b32 s3, exec_lo, s2
	s_cbranch_execz .LBB0_4
; %bb.3:                                ;   in Loop: Header=BB0_2 Depth=1
	v_cvt_f32_u32_e32 v2, s18
	v_cvt_f32_u32_e32 v7, s19
	s_sub_u32 s2, 0, s18
	s_subb_u32 s20, 0, s19
	s_delay_alu instid0(VALU_DEP_1) | instskip(NEXT) | instid1(VALU_DEP_1)
	v_fmac_f32_e32 v2, 0x4f800000, v7
	v_rcp_f32_e32 v2, v2
	s_waitcnt_depctr 0xfff
	v_mul_f32_e32 v2, 0x5f7ffffc, v2
	s_delay_alu instid0(VALU_DEP_1) | instskip(NEXT) | instid1(VALU_DEP_1)
	v_mul_f32_e32 v7, 0x2f800000, v2
	v_trunc_f32_e32 v7, v7
	s_delay_alu instid0(VALU_DEP_1) | instskip(SKIP_1) | instid1(VALU_DEP_2)
	v_fmac_f32_e32 v2, 0xcf800000, v7
	v_cvt_u32_f32_e32 v7, v7
	v_cvt_u32_f32_e32 v2, v2
	s_delay_alu instid0(VALU_DEP_2) | instskip(NEXT) | instid1(VALU_DEP_2)
	v_mul_lo_u32 v8, s2, v7
	v_mul_hi_u32 v10, s2, v2
	v_mul_lo_u32 v11, s20, v2
	s_delay_alu instid0(VALU_DEP_2) | instskip(SKIP_1) | instid1(VALU_DEP_2)
	v_add_nc_u32_e32 v8, v10, v8
	v_mul_lo_u32 v10, s2, v2
	v_add_nc_u32_e32 v8, v8, v11
	s_delay_alu instid0(VALU_DEP_2) | instskip(NEXT) | instid1(VALU_DEP_2)
	v_mul_hi_u32 v11, v2, v10
	v_mul_lo_u32 v12, v2, v8
	v_mul_hi_u32 v13, v2, v8
	v_mul_hi_u32 v14, v7, v10
	v_mul_lo_u32 v10, v7, v10
	v_mul_hi_u32 v15, v7, v8
	v_mul_lo_u32 v8, v7, v8
	v_add_co_u32 v11, vcc_lo, v11, v12
	v_add_co_ci_u32_e32 v12, vcc_lo, 0, v13, vcc_lo
	s_delay_alu instid0(VALU_DEP_2) | instskip(NEXT) | instid1(VALU_DEP_2)
	v_add_co_u32 v10, vcc_lo, v11, v10
	v_add_co_ci_u32_e32 v10, vcc_lo, v12, v14, vcc_lo
	v_add_co_ci_u32_e32 v11, vcc_lo, 0, v15, vcc_lo
	s_delay_alu instid0(VALU_DEP_2) | instskip(NEXT) | instid1(VALU_DEP_2)
	v_add_co_u32 v8, vcc_lo, v10, v8
	v_add_co_ci_u32_e32 v10, vcc_lo, 0, v11, vcc_lo
	s_delay_alu instid0(VALU_DEP_2) | instskip(NEXT) | instid1(VALU_DEP_2)
	v_add_co_u32 v2, vcc_lo, v2, v8
	v_add_co_ci_u32_e32 v7, vcc_lo, v7, v10, vcc_lo
	s_delay_alu instid0(VALU_DEP_2) | instskip(SKIP_1) | instid1(VALU_DEP_3)
	v_mul_hi_u32 v8, s2, v2
	v_mul_lo_u32 v11, s20, v2
	v_mul_lo_u32 v10, s2, v7
	s_delay_alu instid0(VALU_DEP_1) | instskip(SKIP_1) | instid1(VALU_DEP_2)
	v_add_nc_u32_e32 v8, v8, v10
	v_mul_lo_u32 v10, s2, v2
	v_add_nc_u32_e32 v8, v8, v11
	s_delay_alu instid0(VALU_DEP_2) | instskip(NEXT) | instid1(VALU_DEP_2)
	v_mul_hi_u32 v11, v2, v10
	v_mul_lo_u32 v12, v2, v8
	v_mul_hi_u32 v13, v2, v8
	v_mul_hi_u32 v14, v7, v10
	v_mul_lo_u32 v10, v7, v10
	v_mul_hi_u32 v15, v7, v8
	v_mul_lo_u32 v8, v7, v8
	v_add_co_u32 v11, vcc_lo, v11, v12
	v_add_co_ci_u32_e32 v12, vcc_lo, 0, v13, vcc_lo
	s_delay_alu instid0(VALU_DEP_2) | instskip(NEXT) | instid1(VALU_DEP_2)
	v_add_co_u32 v10, vcc_lo, v11, v10
	v_add_co_ci_u32_e32 v10, vcc_lo, v12, v14, vcc_lo
	v_add_co_ci_u32_e32 v11, vcc_lo, 0, v15, vcc_lo
	s_delay_alu instid0(VALU_DEP_2) | instskip(NEXT) | instid1(VALU_DEP_2)
	v_add_co_u32 v8, vcc_lo, v10, v8
	v_add_co_ci_u32_e32 v10, vcc_lo, 0, v11, vcc_lo
	s_delay_alu instid0(VALU_DEP_2) | instskip(NEXT) | instid1(VALU_DEP_2)
	v_add_co_u32 v2, vcc_lo, v2, v8
	v_add_co_ci_u32_e32 v14, vcc_lo, v7, v10, vcc_lo
	s_delay_alu instid0(VALU_DEP_2) | instskip(SKIP_1) | instid1(VALU_DEP_3)
	v_mul_hi_u32 v15, v5, v2
	v_mad_u64_u32 v[10:11], null, v6, v2, 0
	v_mad_u64_u32 v[7:8], null, v5, v14, 0
	;; [unrolled: 1-line block ×3, first 2 shown]
	s_delay_alu instid0(VALU_DEP_2) | instskip(NEXT) | instid1(VALU_DEP_3)
	v_add_co_u32 v2, vcc_lo, v15, v7
	v_add_co_ci_u32_e32 v7, vcc_lo, 0, v8, vcc_lo
	s_delay_alu instid0(VALU_DEP_2) | instskip(NEXT) | instid1(VALU_DEP_2)
	v_add_co_u32 v2, vcc_lo, v2, v10
	v_add_co_ci_u32_e32 v2, vcc_lo, v7, v11, vcc_lo
	v_add_co_ci_u32_e32 v7, vcc_lo, 0, v13, vcc_lo
	s_delay_alu instid0(VALU_DEP_2) | instskip(NEXT) | instid1(VALU_DEP_2)
	v_add_co_u32 v2, vcc_lo, v2, v12
	v_add_co_ci_u32_e32 v10, vcc_lo, 0, v7, vcc_lo
	s_delay_alu instid0(VALU_DEP_2) | instskip(SKIP_1) | instid1(VALU_DEP_3)
	v_mul_lo_u32 v11, s19, v2
	v_mad_u64_u32 v[7:8], null, s18, v2, 0
	v_mul_lo_u32 v12, s18, v10
	s_delay_alu instid0(VALU_DEP_2) | instskip(NEXT) | instid1(VALU_DEP_2)
	v_sub_co_u32 v7, vcc_lo, v5, v7
	v_add3_u32 v8, v8, v12, v11
	s_delay_alu instid0(VALU_DEP_1) | instskip(NEXT) | instid1(VALU_DEP_1)
	v_sub_nc_u32_e32 v11, v6, v8
	v_subrev_co_ci_u32_e64 v11, s2, s19, v11, vcc_lo
	v_add_co_u32 v12, s2, v2, 2
	s_delay_alu instid0(VALU_DEP_1) | instskip(SKIP_3) | instid1(VALU_DEP_3)
	v_add_co_ci_u32_e64 v13, s2, 0, v10, s2
	v_sub_co_u32 v14, s2, v7, s18
	v_sub_co_ci_u32_e32 v8, vcc_lo, v6, v8, vcc_lo
	v_subrev_co_ci_u32_e64 v11, s2, 0, v11, s2
	v_cmp_le_u32_e32 vcc_lo, s18, v14
	s_delay_alu instid0(VALU_DEP_3) | instskip(SKIP_1) | instid1(VALU_DEP_4)
	v_cmp_eq_u32_e64 s2, s19, v8
	v_cndmask_b32_e64 v14, 0, -1, vcc_lo
	v_cmp_le_u32_e32 vcc_lo, s19, v11
	v_cndmask_b32_e64 v15, 0, -1, vcc_lo
	v_cmp_le_u32_e32 vcc_lo, s18, v7
	;; [unrolled: 2-line block ×3, first 2 shown]
	v_cndmask_b32_e64 v16, 0, -1, vcc_lo
	v_cmp_eq_u32_e32 vcc_lo, s19, v11
	s_delay_alu instid0(VALU_DEP_2) | instskip(SKIP_3) | instid1(VALU_DEP_3)
	v_cndmask_b32_e64 v7, v16, v7, s2
	v_cndmask_b32_e32 v11, v15, v14, vcc_lo
	v_add_co_u32 v14, vcc_lo, v2, 1
	v_add_co_ci_u32_e32 v15, vcc_lo, 0, v10, vcc_lo
	v_cmp_ne_u32_e32 vcc_lo, 0, v11
	s_delay_alu instid0(VALU_DEP_2) | instskip(SKIP_1) | instid1(VALU_DEP_2)
	v_dual_cndmask_b32 v8, v15, v13 :: v_dual_cndmask_b32 v11, v14, v12
	v_cmp_ne_u32_e32 vcc_lo, 0, v7
	v_cndmask_b32_e32 v7, v2, v11, vcc_lo
	s_delay_alu instid0(VALU_DEP_3)
	v_cndmask_b32_e32 v8, v10, v8, vcc_lo
.LBB0_4:                                ;   in Loop: Header=BB0_2 Depth=1
	s_and_not1_saveexec_b32 s2, s3
	s_cbranch_execz .LBB0_6
; %bb.5:                                ;   in Loop: Header=BB0_2 Depth=1
	v_cvt_f32_u32_e32 v2, s18
	s_sub_i32 s3, 0, s18
	s_delay_alu instid0(VALU_DEP_1) | instskip(SKIP_2) | instid1(VALU_DEP_1)
	v_rcp_iflag_f32_e32 v2, v2
	s_waitcnt_depctr 0xfff
	v_mul_f32_e32 v2, 0x4f7ffffe, v2
	v_cvt_u32_f32_e32 v2, v2
	s_delay_alu instid0(VALU_DEP_1) | instskip(NEXT) | instid1(VALU_DEP_1)
	v_mul_lo_u32 v7, s3, v2
	v_mul_hi_u32 v7, v2, v7
	s_delay_alu instid0(VALU_DEP_1) | instskip(NEXT) | instid1(VALU_DEP_1)
	v_add_nc_u32_e32 v2, v2, v7
	v_mul_hi_u32 v2, v5, v2
	s_delay_alu instid0(VALU_DEP_1) | instskip(SKIP_1) | instid1(VALU_DEP_2)
	v_mul_lo_u32 v7, v2, s18
	v_add_nc_u32_e32 v8, 1, v2
	v_sub_nc_u32_e32 v7, v5, v7
	s_delay_alu instid0(VALU_DEP_1) | instskip(SKIP_1) | instid1(VALU_DEP_2)
	v_subrev_nc_u32_e32 v10, s18, v7
	v_cmp_le_u32_e32 vcc_lo, s18, v7
	v_dual_cndmask_b32 v7, v7, v10 :: v_dual_cndmask_b32 v2, v2, v8
	s_delay_alu instid0(VALU_DEP_1) | instskip(NEXT) | instid1(VALU_DEP_2)
	v_cmp_le_u32_e32 vcc_lo, s18, v7
	v_add_nc_u32_e32 v8, 1, v2
	s_delay_alu instid0(VALU_DEP_1)
	v_dual_cndmask_b32 v7, v2, v8 :: v_dual_mov_b32 v8, v1
.LBB0_6:                                ;   in Loop: Header=BB0_2 Depth=1
	s_or_b32 exec_lo, exec_lo, s2
	s_load_b64 s[2:3], s[12:13], 0x0
	s_delay_alu instid0(VALU_DEP_1) | instskip(NEXT) | instid1(VALU_DEP_2)
	v_mul_lo_u32 v2, v8, s18
	v_mul_lo_u32 v12, v7, s19
	v_mad_u64_u32 v[10:11], null, v7, s18, 0
	s_add_u32 s16, s16, 1
	s_addc_u32 s17, s17, 0
	s_add_u32 s12, s12, 8
	s_addc_u32 s13, s13, 0
	;; [unrolled: 2-line block ×3, first 2 shown]
	s_delay_alu instid0(VALU_DEP_1) | instskip(SKIP_1) | instid1(VALU_DEP_2)
	v_add3_u32 v2, v11, v12, v2
	v_sub_co_u32 v10, vcc_lo, v5, v10
	v_sub_co_ci_u32_e32 v2, vcc_lo, v6, v2, vcc_lo
	s_waitcnt lgkmcnt(0)
	s_delay_alu instid0(VALU_DEP_2) | instskip(NEXT) | instid1(VALU_DEP_2)
	v_mul_lo_u32 v11, s3, v10
	v_mul_lo_u32 v2, s2, v2
	v_mad_u64_u32 v[5:6], null, s2, v10, v[3:4]
	v_cmp_ge_u64_e64 s2, s[16:17], s[6:7]
	s_delay_alu instid0(VALU_DEP_1) | instskip(NEXT) | instid1(VALU_DEP_2)
	s_and_b32 vcc_lo, exec_lo, s2
	v_add3_u32 v4, v11, v6, v2
	s_delay_alu instid0(VALU_DEP_3)
	v_mov_b32_e32 v3, v5
	s_cbranch_vccnz .LBB0_9
; %bb.7:                                ;   in Loop: Header=BB0_2 Depth=1
	v_dual_mov_b32 v5, v7 :: v_dual_mov_b32 v6, v8
	s_branch .LBB0_2
.LBB0_8:
	v_dual_mov_b32 v8, v6 :: v_dual_mov_b32 v7, v5
.LBB0_9:
	s_lshl_b64 s[2:3], s[6:7], 3
	v_mul_hi_u32 v5, 0x9d89d8a, v0
	s_add_u32 s2, s10, s2
	s_addc_u32 s3, s11, s3
	s_load_b64 s[2:3], s[2:3], 0x0
	s_load_b64 s[0:1], s[0:1], 0x20
	s_waitcnt lgkmcnt(0)
	v_mad_u64_u32 v[1:2], null, s2, v7, v[3:4]
	v_and_b32_e32 v3, 1, v9
	v_mul_lo_u32 v6, s2, v8
	v_mul_lo_u32 v10, s3, v7
	v_mul_u32_u24_e32 v4, 26, v5
	s_delay_alu instid0(VALU_DEP_4) | instskip(NEXT) | instid1(VALU_DEP_2)
	v_cmp_eq_u32_e32 vcc_lo, 1, v3
	v_sub_nc_u32_e32 v58, v0, v4
	s_delay_alu instid0(VALU_DEP_4) | instskip(SKIP_2) | instid1(VALU_DEP_4)
	v_add3_u32 v2, v10, v2, v6
	v_cndmask_b32_e64 v132, 0, 0x11e, vcc_lo
	v_cmp_gt_u64_e32 vcc_lo, s[0:1], v[7:8]
	v_lshlrev_b32_e32 v0, 4, v58
	s_delay_alu instid0(VALU_DEP_4) | instskip(NEXT) | instid1(VALU_DEP_4)
	v_lshlrev_b64 v[56:57], 4, v[1:2]
	v_lshlrev_b32_e32 v135, 4, v132
	s_and_saveexec_b32 s1, vcc_lo
	s_cbranch_execz .LBB0_11
; %bb.10:
	v_mov_b32_e32 v59, 0
	s_delay_alu instid0(VALU_DEP_3) | instskip(NEXT) | instid1(VALU_DEP_1)
	v_add_co_u32 v3, s0, s8, v56
	v_add_co_ci_u32_e64 v4, s0, s9, v57, s0
	s_delay_alu instid0(VALU_DEP_3) | instskip(SKIP_1) | instid1(VALU_DEP_2)
	v_lshlrev_b64 v[1:2], 4, v[58:59]
	v_add3_u32 v45, 0, v135, v0
	v_add_co_u32 v37, s0, v3, v1
	s_delay_alu instid0(VALU_DEP_1)
	v_add_co_ci_u32_e64 v38, s0, v4, v2, s0
	s_clause 0x5
	global_load_b128 v[1:4], v[37:38], off
	global_load_b128 v[5:8], v[37:38], off offset:416
	global_load_b128 v[9:12], v[37:38], off offset:832
	;; [unrolled: 1-line block ×5, first 2 shown]
	v_add_co_u32 v41, s0, 0x1000, v37
	s_delay_alu instid0(VALU_DEP_1)
	v_add_co_ci_u32_e64 v42, s0, 0, v38, s0
	s_clause 0x4
	global_load_b128 v[25:28], v[37:38], off offset:2496
	global_load_b128 v[29:32], v[37:38], off offset:2912
	;; [unrolled: 1-line block ×5, first 2 shown]
	s_waitcnt vmcnt(10)
	ds_store_b128 v45, v[1:4]
	s_waitcnt vmcnt(9)
	ds_store_b128 v45, v[5:8] offset:416
	s_waitcnt vmcnt(8)
	ds_store_b128 v45, v[9:12] offset:832
	;; [unrolled: 2-line block ×10, first 2 shown]
.LBB0_11:
	s_or_b32 exec_lo, exec_lo, s1
	v_add_nc_u32_e32 v133, 0, v0
	s_waitcnt lgkmcnt(0)
	s_barrier
	buffer_gl0_inv
	v_add3_u32 v134, 0, v135, v0
	v_add_nc_u32_e32 v131, v133, v135
	s_mov_b32 s2, 0x1ea71119
	s_mov_b32 s22, 0x42a4c3d2
	;; [unrolled: 1-line block ×4, first 2 shown]
	ds_load_b128 v[4:7], v131 offset:4224
	ds_load_b128 v[44:47], v131 offset:352
	ds_load_b128 v[20:23], v134
	ds_load_b128 v[8:11], v131 offset:3872
	ds_load_b128 v[52:55], v131 offset:704
	;; [unrolled: 1-line block ×4, first 2 shown]
	s_mov_b32 s6, 0xb2365da1
	s_mov_b32 s20, 0x2ef20147
	;; [unrolled: 1-line block ×4, first 2 shown]
	ds_load_b128 v[16:19], v131 offset:3168
	ds_load_b128 v[40:43], v131 offset:1408
	s_mov_b32 s10, 0x93053d00
	s_mov_b32 s24, 0x4bc48dbf
	;; [unrolled: 1-line block ×4, first 2 shown]
	ds_load_b128 v[28:31], v131 offset:1760
	ds_load_b128 v[24:27], v131 offset:2816
	s_mov_b32 s28, 0x24c2f84
	s_mov_b32 s12, 0xd0032e0c
	;; [unrolled: 1-line block ×6, first 2 shown]
	s_waitcnt lgkmcnt(9)
	v_add_f64 v[93:94], v[46:47], -v[6:7]
	v_add_f64 v[73:74], v[46:47], v[6:7]
	v_add_f64 v[75:76], v[44:45], v[4:5]
	v_add_f64 v[101:102], v[44:45], -v[4:5]
	s_waitcnt lgkmcnt(6)
	v_add_f64 v[127:128], v[54:55], -v[10:11]
	v_add_f64 v[79:80], v[54:55], v[10:11]
	v_add_f64 v[77:78], v[52:53], v[8:9]
	v_add_f64 v[129:130], v[52:53], -v[8:9]
	;; [unrolled: 5-line block ×4, first 2 shown]
	s_waitcnt lgkmcnt(0)
	v_add_f64 v[83:84], v[30:31], -v[26:27]
	v_add_f64 v[61:62], v[30:31], v[26:27]
	s_mov_b32 s19, 0x3fefc445
	s_mov_b32 s18, 0x66966769
	v_add_f64 v[67:68], v[28:29], v[24:25]
	v_add_f64 v[105:106], v[28:29], -v[24:25]
	s_mov_b32 s16, 0xe00740e9
	s_mov_b32 s17, 0x3fec55a7
	;; [unrolled: 1-line block ×4, first 2 shown]
	s_mov_b32 s33, exec_lo
	v_mul_f64 v[95:96], v[93:94], s[22:23]
	v_mul_f64 v[97:98], v[73:74], s[2:3]
	;; [unrolled: 1-line block ×10, first 2 shown]
	v_fma_f64 v[0:1], v[75:76], s[2:3], -v[95:96]
	v_fma_f64 v[2:3], v[101:102], s[22:23], v[97:98]
	v_fma_f64 v[32:33], v[77:78], s[6:7], -v[87:88]
	v_fma_f64 v[34:35], v[129:130], s[20:21], v[91:92]
	;; [unrolled: 2-line block ×5, first 2 shown]
	v_add_f64 v[0:1], v[20:21], v[0:1]
	v_add_f64 v[2:3], v[22:23], v[2:3]
	s_delay_alu instid0(VALU_DEP_2) | instskip(NEXT) | instid1(VALU_DEP_2)
	v_add_f64 v[0:1], v[32:33], v[0:1]
	v_add_f64 v[2:3], v[34:35], v[2:3]
	ds_load_b128 v[36:39], v131 offset:2112
	ds_load_b128 v[32:35], v131 offset:2464
	s_waitcnt lgkmcnt(0)
	s_barrier
	buffer_gl0_inv
	v_add_f64 v[99:100], v[38:39], -v[34:35]
	v_add_f64 v[59:60], v[38:39], v[34:35]
	v_add_f64 v[0:1], v[63:64], v[0:1]
	v_add_f64 v[2:3], v[107:108], v[2:3]
	v_add_f64 v[63:64], v[36:37], v[32:33]
	v_add_f64 v[107:108], v[36:37], -v[32:33]
	v_mul_f64 v[123:124], v[99:100], s[26:27]
	v_mul_f64 v[125:126], v[59:60], s[16:17]
	v_add_f64 v[0:1], v[136:137], v[0:1]
	v_add_f64 v[2:3], v[138:139], v[2:3]
	s_delay_alu instid0(VALU_DEP_4) | instskip(NEXT) | instid1(VALU_DEP_4)
	v_fma_f64 v[136:137], v[63:64], s[16:17], -v[123:124]
	v_fma_f64 v[138:139], v[107:108], s[26:27], v[125:126]
	s_delay_alu instid0(VALU_DEP_4) | instskip(NEXT) | instid1(VALU_DEP_4)
	v_add_f64 v[0:1], v[140:141], v[0:1]
	v_add_f64 v[2:3], v[142:143], v[2:3]
	s_delay_alu instid0(VALU_DEP_2) | instskip(NEXT) | instid1(VALU_DEP_2)
	v_add_f64 v[0:1], v[136:137], v[0:1]
	v_add_f64 v[2:3], v[138:139], v[2:3]
	v_cmpx_gt_u32_e32 22, v58
	s_cbranch_execz .LBB0_13
; %bb.12:
	v_add_f64 v[46:47], v[22:23], v[46:47]
	v_add_f64 v[44:45], v[20:21], v[44:45]
	v_mul_f64 v[142:143], v[101:102], s[22:23]
	v_mul_f64 v[150:151], v[101:102], s[24:25]
	;; [unrolled: 1-line block ×4, first 2 shown]
	s_mov_b32 s1, 0xbfe5384d
	s_mov_b32 s0, s28
	v_mul_f64 v[154:155], v[129:130], s[18:19]
	v_mul_f64 v[156:157], v[127:128], s[18:19]
	;; [unrolled: 1-line block ×26, first 2 shown]
	s_mov_b32 s35, 0x3fedeba7
	s_mov_b32 s34, s20
	v_mul_f64 v[200:201], v[115:116], s[22:23]
	v_mul_f64 v[202:203], v[103:104], s[22:23]
	v_add_f64 v[136:137], v[46:47], v[54:55]
	v_add_f64 v[138:139], v[44:45], v[52:53]
	v_mul_f64 v[54:55], v[107:108], s[18:19]
	v_mul_f64 v[44:45], v[99:100], s[18:19]
	s_mov_b32 s19, 0xbfefc445
	v_mul_f64 v[52:53], v[105:106], s[26:27]
	v_mul_f64 v[214:215], v[101:102], s[18:19]
	;; [unrolled: 1-line block ×4, first 2 shown]
	v_add_f64 v[97:98], v[97:98], -v[142:143]
	v_fma_f64 v[142:143], v[73:74], s[10:11], v[150:151]
	v_fma_f64 v[150:151], v[73:74], s[10:11], -v[150:151]
	v_fma_f64 v[230:231], v[75:76], s[10:11], -v[164:165]
	v_fma_f64 v[164:165], v[75:76], s[10:11], v[164:165]
	v_add_f64 v[95:96], v[140:141], v[95:96]
	v_fma_f64 v[140:141], v[73:74], s[6:7], v[160:161]
	v_fma_f64 v[160:161], v[73:74], s[6:7], -v[160:161]
	v_fma_f64 v[232:233], v[75:76], s[6:7], -v[166:167]
	v_fma_f64 v[166:167], v[75:76], s[6:7], v[166:167]
	v_add_f64 v[117:118], v[117:118], -v[168:169]
	v_add_f64 v[111:112], v[111:112], -v[170:171]
	v_add_f64 v[119:120], v[176:177], v[119:120]
	v_add_f64 v[113:114], v[178:179], v[113:114]
	v_fma_f64 v[168:169], v[79:80], s[10:11], v[186:187]
	v_fma_f64 v[170:171], v[79:80], s[10:11], -v[186:187]
	v_fma_f64 v[176:177], v[77:78], s[12:13], -v[188:189]
	v_fma_f64 v[178:179], v[77:78], s[12:13], v[188:189]
	v_fma_f64 v[186:187], v[75:76], s[12:13], v[216:217]
	v_add_f64 v[125:126], v[125:126], -v[146:147]
	v_add_f64 v[121:122], v[121:122], -v[144:145]
	v_fma_f64 v[144:145], v[79:80], s[14:15], v[154:155]
	v_fma_f64 v[146:147], v[79:80], s[14:15], -v[154:155]
	v_fma_f64 v[154:155], v[79:80], s[12:13], -v[184:185]
	v_mul_f64 v[220:221], v[115:116], s[0:1]
	v_mul_f64 v[222:223], v[115:116], s[34:35]
	;; [unrolled: 1-line block ×5, first 2 shown]
	v_add_f64 v[136:137], v[136:137], v[50:51]
	v_add_f64 v[138:139], v[138:139], v[48:49]
	v_mul_f64 v[50:51], v[89:90], s[26:27]
	v_mul_f64 v[48:49], v[81:82], s[26:27]
	s_mov_b32 s27, 0xbfddbe06
	v_mul_f64 v[103:104], v[103:104], s[18:19]
	v_mul_f64 v[101:102], v[101:102], s[26:27]
	;; [unrolled: 1-line block ×3, first 2 shown]
	v_fma_f64 v[188:189], v[73:74], s[14:15], v[214:215]
	v_fma_f64 v[214:215], v[73:74], s[14:15], -v[214:215]
	v_add_f64 v[91:92], v[91:92], -v[172:173]
	v_fma_f64 v[172:173], v[79:80], s[2:3], v[129:130]
	v_add_f64 v[142:143], v[22:23], v[142:143]
	v_add_f64 v[230:231], v[20:21], v[230:231]
	v_add_f64 v[150:151], v[22:23], v[150:151]
	v_add_f64 v[164:165], v[20:21], v[164:165]
	v_add_f64 v[140:141], v[22:23], v[140:141]
	v_add_f64 v[160:161], v[22:23], v[160:161]
	v_add_f64 v[166:167], v[20:21], v[166:167]
	v_add_f64 v[97:98], v[22:23], v[97:98]
	v_add_f64 v[95:96], v[20:21], v[95:96]
	v_add_f64 v[123:124], v[174:175], v[123:124]
	v_fma_f64 v[174:175], v[77:78], s[14:15], -v[156:157]
	v_fma_f64 v[156:157], v[77:78], s[14:15], v[156:157]
	v_add_f64 v[232:233], v[20:21], v[232:233]
	s_mov_b32 s29, 0x3fea55e2
	s_mov_b32 s28, s22
	v_add_f64 v[186:187], v[20:21], v[186:187]
	s_mov_b32 s31, 0x3fcea1e5
	s_mov_b32 s30, s24
	v_mul_f64 v[192:193], v[89:90], s[20:21]
	v_mul_f64 v[194:195], v[81:82], s[20:21]
	;; [unrolled: 1-line block ×3, first 2 shown]
	v_fma_f64 v[236:237], v[85:86], s[16:17], -v[162:163]
	v_fma_f64 v[162:163], v[85:86], s[16:17], v[162:163]
	v_fma_f64 v[238:239], v[71:72], s[12:13], v[220:221]
	v_fma_f64 v[220:221], v[71:72], s[12:13], -v[220:221]
	v_mul_f64 v[204:205], v[105:106], s[20:21]
	v_add_f64 v[42:43], v[136:137], v[42:43]
	v_add_f64 v[40:41], v[138:139], v[40:41]
	v_mul_f64 v[136:137], v[105:106], s[22:23]
	v_mul_f64 v[138:139], v[83:84], s[20:21]
	;; [unrolled: 1-line block ×5, first 2 shown]
	v_fma_f64 v[234:235], v[75:76], s[16:17], -v[93:94]
	v_add_f64 v[188:189], v[22:23], v[188:189]
	v_add_f64 v[214:215], v[22:23], v[214:215]
	v_mul_f64 v[208:209], v[99:100], s[20:21]
	v_mul_f64 v[210:211], v[99:100], s[24:25]
	v_add_f64 v[154:155], v[154:155], v[160:161]
	v_add_f64 v[166:167], v[178:179], v[166:167]
	v_add_f64 v[91:92], v[91:92], v[97:98]
	v_fma_f64 v[160:161], v[65:66], s[16:17], v[50:51]
	v_fma_f64 v[50:51], v[65:66], s[16:17], -v[50:51]
	v_fma_f64 v[97:98], v[69:70], s[16:17], -v[48:49]
	v_fma_f64 v[48:49], v[69:70], s[16:17], v[48:49]
	v_add_f64 v[176:177], v[176:177], v[232:233]
	v_mul_f64 v[232:233], v[99:100], s[28:29]
	v_mul_f64 v[99:100], v[99:100], s[0:1]
	v_add_f64 v[156:157], v[156:157], v[186:187]
	v_fma_f64 v[178:179], v[65:66], s[6:7], v[192:193]
	v_fma_f64 v[192:193], v[65:66], s[6:7], -v[192:193]
	v_add_f64 v[30:31], v[42:43], v[30:31]
	v_add_f64 v[28:29], v[40:41], v[28:29]
	;; [unrolled: 1-line block ×3, first 2 shown]
	v_fma_f64 v[182:183], v[75:76], s[12:13], -v[216:217]
	v_fma_f64 v[216:217], v[75:76], s[14:15], v[218:219]
	v_add_f64 v[40:41], v[180:181], v[109:110]
	v_fma_f64 v[87:88], v[79:80], s[16:17], v[148:149]
	v_fma_f64 v[109:110], v[79:80], s[16:17], -v[148:149]
	v_fma_f64 v[148:149], v[79:80], s[12:13], v[184:185]
	v_fma_f64 v[180:181], v[73:74], s[12:13], v[212:213]
	v_fma_f64 v[184:185], v[73:74], s[12:13], -v[212:213]
	v_fma_f64 v[212:213], v[75:76], s[14:15], -v[218:219]
	v_fma_f64 v[218:219], v[73:74], s[16:17], v[101:102]
	v_fma_f64 v[73:74], v[73:74], s[16:17], -v[101:102]
	v_fma_f64 v[75:76], v[75:76], s[16:17], v[93:94]
	v_fma_f64 v[79:80], v[79:80], s[2:3], -v[129:130]
	v_fma_f64 v[129:130], v[77:78], s[16:17], -v[152:153]
	v_fma_f64 v[152:153], v[77:78], s[16:17], v[152:153]
	v_fma_f64 v[101:102], v[77:78], s[10:11], v[190:191]
	v_fma_f64 v[93:94], v[77:78], s[10:11], -v[190:191]
	v_fma_f64 v[190:191], v[77:78], s[2:3], -v[127:128]
	v_fma_f64 v[77:78], v[77:78], s[2:3], v[127:128]
	v_add_f64 v[234:235], v[20:21], v[234:235]
	v_fma_f64 v[127:128], v[71:72], s[2:3], v[200:201]
	v_fma_f64 v[200:201], v[71:72], s[2:3], -v[200:201]
	v_add_f64 v[170:171], v[170:171], v[214:215]
	v_add_f64 v[168:169], v[168:169], v[188:189]
	;; [unrolled: 1-line block ×3, first 2 shown]
	v_fma_f64 v[214:215], v[61:62], s[6:7], v[204:205]
	v_fma_f64 v[204:205], v[61:62], s[6:7], -v[204:205]
	v_add_f64 v[30:31], v[30:31], v[38:39]
	v_add_f64 v[28:29], v[28:29], v[36:37]
	v_fma_f64 v[36:37], v[71:72], s[16:17], v[158:159]
	v_add_f64 v[182:183], v[20:21], v[182:183]
	v_add_f64 v[216:217], v[20:21], v[216:217]
	v_fma_f64 v[38:39], v[71:72], s[16:17], -v[158:159]
	v_fma_f64 v[158:159], v[85:86], s[2:3], -v[202:203]
	v_fma_f64 v[202:203], v[85:86], s[2:3], v[202:203]
	v_add_f64 v[87:88], v[87:88], v[142:143]
	v_add_f64 v[180:181], v[22:23], v[180:181]
	;; [unrolled: 1-line block ×7, first 2 shown]
	v_fma_f64 v[73:74], v[71:72], s[6:7], v[222:223]
	v_fma_f64 v[75:76], v[71:72], s[6:7], -v[222:223]
	v_fma_f64 v[222:223], v[71:72], s[14:15], v[115:116]
	v_fma_f64 v[71:72], v[71:72], s[14:15], -v[115:116]
	v_fma_f64 v[115:116], v[85:86], s[12:13], -v[224:225]
	v_fma_f64 v[224:225], v[85:86], s[12:13], v[224:225]
	v_mul_f64 v[142:143], v[81:82], s[28:29]
	v_add_f64 v[129:130], v[129:130], v[230:231]
	v_mul_f64 v[230:231], v[81:82], s[30:31]
	v_mul_f64 v[81:82], v[81:82], s[18:19]
	v_add_f64 v[109:110], v[109:110], v[150:151]
	v_add_f64 v[152:153], v[152:153], v[164:165]
	;; [unrolled: 1-line block ×4, first 2 shown]
	v_mul_f64 v[164:165], v[105:106], s[30:31]
	v_mul_f64 v[105:106], v[105:106], s[0:1]
	;; [unrolled: 1-line block ×4, first 2 shown]
	v_fma_f64 v[95:96], v[69:70], s[6:7], -v[194:195]
	v_fma_f64 v[194:195], v[69:70], s[6:7], v[194:195]
	v_mul_f64 v[150:151], v[107:108], s[28:29]
	v_mul_f64 v[107:108], v[107:108], s[0:1]
	v_add_f64 v[30:31], v[30:31], v[34:35]
	v_add_f64 v[28:29], v[28:29], v[32:33]
	v_fma_f64 v[32:33], v[85:86], s[6:7], -v[226:227]
	v_fma_f64 v[34:35], v[85:86], s[6:7], v[226:227]
	v_fma_f64 v[226:227], v[85:86], s[14:15], -v[103:104]
	v_fma_f64 v[85:86], v[85:86], s[14:15], v[103:104]
	v_mul_f64 v[103:104], v[89:90], s[30:31]
	v_mul_f64 v[89:90], v[89:90], s[18:19]
	v_add_f64 v[101:102], v[101:102], v[216:217]
	v_add_f64 v[144:145], v[144:145], v[180:181]
	;; [unrolled: 1-line block ×8, first 2 shown]
	v_fma_f64 v[77:78], v[61:62], s[2:3], -v[136:137]
	v_fma_f64 v[79:80], v[65:66], s[2:3], v[228:229]
	v_add_f64 v[38:39], v[38:39], v[154:155]
	v_add_f64 v[75:76], v[75:76], v[170:171]
	;; [unrolled: 1-line block ×3, first 2 shown]
	v_fma_f64 v[216:217], v[61:62], s[16:17], v[52:53]
	v_fma_f64 v[52:53], v[61:62], s[16:17], -v[52:53]
	v_fma_f64 v[212:213], v[69:70], s[10:11], v[230:231]
	v_fma_f64 v[218:219], v[69:70], s[14:15], -v[81:82]
	v_add_f64 v[109:110], v[220:221], v[109:110]
	v_fma_f64 v[180:181], v[59:60], s[14:15], v[54:55]
	v_add_f64 v[36:37], v[36:37], v[140:141]
	v_add_f64 v[140:141], v[162:163], v[166:167]
	;; [unrolled: 1-line block ×3, first 2 shown]
	v_fma_f64 v[54:55], v[59:60], s[14:15], -v[54:55]
	v_fma_f64 v[182:183], v[59:60], s[6:7], v[196:197]
	v_fma_f64 v[154:155], v[67:68], s[12:13], -v[83:84]
	v_fma_f64 v[196:197], v[59:60], s[6:7], -v[196:197]
	v_fma_f64 v[184:185], v[59:60], s[10:11], v[198:199]
	v_fma_f64 v[198:199], v[59:60], s[10:11], -v[198:199]
	v_add_f64 v[26:27], v[30:31], v[26:27]
	v_add_f64 v[24:25], v[28:29], v[24:25]
	;; [unrolled: 1-line block ×3, first 2 shown]
	v_fma_f64 v[30:31], v[61:62], s[2:3], v[136:137]
	v_fma_f64 v[136:137], v[65:66], s[2:3], -v[228:229]
	v_fma_f64 v[190:191], v[69:70], s[10:11], -v[230:231]
	v_fma_f64 v[186:187], v[65:66], s[10:11], v[103:104]
	v_fma_f64 v[103:104], v[65:66], s[10:11], -v[103:104]
	v_fma_f64 v[188:189], v[65:66], s[14:15], v[89:90]
	v_fma_f64 v[65:66], v[65:66], s[14:15], -v[89:90]
	v_fma_f64 v[89:90], v[69:70], s[2:3], -v[142:143]
	v_fma_f64 v[142:143], v[69:70], s[2:3], v[142:143]
	v_fma_f64 v[69:70], v[69:70], s[14:15], v[81:82]
	v_add_f64 v[81:82], v[238:239], v[87:88]
	v_add_f64 v[87:88], v[115:116], v[129:130]
	;; [unrolled: 1-line block ×13, first 2 shown]
	v_fma_f64 v[71:72], v[67:68], s[16:17], -v[46:47]
	v_fma_f64 v[46:47], v[67:68], s[16:17], v[46:47]
	v_fma_f64 v[85:86], v[67:68], s[2:3], -v[206:207]
	v_fma_f64 v[144:145], v[61:62], s[10:11], v[164:165]
	;; [unrolled: 2-line block ×3, first 2 shown]
	v_fma_f64 v[61:62], v[61:62], s[12:13], -v[105:106]
	v_fma_f64 v[105:106], v[67:68], s[10:11], -v[148:149]
	v_fma_f64 v[148:149], v[67:68], s[10:11], v[148:149]
	v_add_f64 v[40:41], v[113:114], v[40:41]
	v_add_f64 v[50:51], v[50:51], v[75:76]
	;; [unrolled: 1-line block ×6, first 2 shown]
	v_fma_f64 v[26:27], v[67:68], s[6:7], -v[138:139]
	v_fma_f64 v[28:29], v[67:68], s[6:7], v[138:139]
	v_fma_f64 v[138:139], v[67:68], s[2:3], v[206:207]
	;; [unrolled: 1-line block ×3, first 2 shown]
	v_add_f64 v[83:84], v[136:137], v[109:110]
	v_add_f64 v[36:37], v[188:189], v[36:37]
	;; [unrolled: 1-line block ×3, first 2 shown]
	v_fma_f64 v[109:110], v[59:60], s[2:3], -v[150:151]
	v_fma_f64 v[113:114], v[63:64], s[2:3], v[232:233]
	v_add_f64 v[65:66], v[69:70], v[140:141]
	v_add_f64 v[79:80], v[79:80], v[81:82]
	v_add_f64 v[81:82], v[89:90], v[87:88]
	v_add_f64 v[87:88], v[142:143], v[115:116]
	v_add_f64 v[69:70], v[117:118], v[91:92]
	v_add_f64 v[34:35], v[48:49], v[34:35]
	v_add_f64 v[103:104], v[103:104], v[127:128]
	v_add_f64 v[48:49], v[212:213], v[101:102]
	v_add_f64 v[89:90], v[218:219], v[129:130]
	v_add_f64 v[42:43], v[186:187], v[42:43]
	v_add_f64 v[91:92], v[190:191], v[111:112]
	v_add_f64 v[32:33], v[97:98], v[32:33]
	v_add_f64 v[22:23], v[192:193], v[22:23]
	v_add_f64 v[20:21], v[194:195], v[20:21]
	v_add_f64 v[75:76], v[178:179], v[93:94]
	v_fma_f64 v[93:94], v[63:64], s[6:7], v[208:209]
	v_fma_f64 v[97:98], v[63:64], s[10:11], v[210:211]
	;; [unrolled: 1-line block ×4, first 2 shown]
	v_fma_f64 v[59:60], v[59:60], s[12:13], -v[107:108]
	v_fma_f64 v[107:108], v[63:64], s[2:3], -v[232:233]
	;; [unrolled: 1-line block ×3, first 2 shown]
	v_add_f64 v[40:41], v[119:120], v[40:41]
	v_add_f64 v[50:51], v[77:78], v[50:51]
	;; [unrolled: 1-line block ×5, first 2 shown]
	v_fma_f64 v[24:25], v[63:64], s[14:15], v[44:45]
	v_fma_f64 v[18:19], v[63:64], s[14:15], -v[44:45]
	v_fma_f64 v[44:45], v[63:64], s[6:7], -v[208:209]
	;; [unrolled: 1-line block ×3, first 2 shown]
	v_fma_f64 v[63:64], v[63:64], s[12:13], v[99:100]
	v_add_f64 v[36:37], v[144:145], v[36:37]
	v_add_f64 v[38:39], v[146:147], v[38:39]
	;; [unrolled: 1-line block ×43, first 2 shown]
	v_mul_u32_u24_e32 v52, 0xc0, v58
	s_delay_alu instid0(VALU_DEP_1)
	v_add3_u32 v52, v133, v52, v135
	v_add_f64 v[6:7], v[85:86], v[6:7]
	v_add_f64 v[4:5], v[87:88], v[4:5]
	;; [unrolled: 1-line block ×3, first 2 shown]
	ds_store_b128 v52, v[12:15] offset:96
	ds_store_b128 v52, v[8:11] offset:112
	;; [unrolled: 1-line block ×11, first 2 shown]
	ds_store_b128 v52, v[4:7]
	ds_store_b128 v52, v[44:47] offset:192
.LBB0_13:
	s_or_b32 exec_lo, exec_lo, s33
	v_add_nc_u32_e32 v48, -13, v58
	v_cmp_gt_u32_e64 s0, 13, v58
	s_waitcnt lgkmcnt(0)
	s_barrier
	buffer_gl0_inv
	s_mov_b32 s2, 0xf8bb580b
	v_cndmask_b32_e64 v20, v48, v58, s0
	v_mov_b32_e32 v50, 0
	s_mov_b32 s6, 0x8764f0ba
	s_mov_b32 s12, 0x8eee2c13
	;; [unrolled: 1-line block ×3, first 2 shown]
	v_mul_i32_i24_e32 v49, 10, v20
	s_mov_b32 s3, 0xbfe14ced
	s_mov_b32 s7, 0x3feaeb8c
	;; [unrolled: 1-line block ×4, first 2 shown]
	v_lshlrev_b64 v[4:5], 4, v[49:50]
	s_mov_b32 s18, 0x43842ef
	s_mov_b32 s20, 0x640f44db
	;; [unrolled: 1-line block ×5, first 2 shown]
	v_add_co_u32 v8, s1, s4, v4
	s_delay_alu instid0(VALU_DEP_1)
	v_add_co_ci_u32_e64 v9, s1, s5, v5, s1
	s_mov_b32 s26, 0x7f775887
	s_mov_b32 s25, 0xbfe82f19
	s_clause 0x9
	global_load_b128 v[4:7], v[8:9], off
	global_load_b128 v[12:15], v[8:9], off offset:144
	global_load_b128 v[16:19], v[8:9], off offset:16
	global_load_b128 v[21:24], v[8:9], off offset:128
	global_load_b128 v[25:28], v[8:9], off offset:32
	global_load_b128 v[29:32], v[8:9], off offset:112
	global_load_b128 v[33:36], v[8:9], off offset:48
	global_load_b128 v[37:40], v[8:9], off offset:96
	global_load_b128 v[41:44], v[8:9], off offset:64
	global_load_b128 v[51:54], v[8:9], off offset:80
	ds_load_b128 v[8:11], v131 offset:416
	ds_load_b128 v[59:62], v131 offset:4160
	;; [unrolled: 1-line block ×10, first 2 shown]
	s_mov_b32 s27, 0xbfe4f49e
	s_mov_b32 s30, 0xfd768dbf
	;; [unrolled: 1-line block ×15, first 2 shown]
	v_cmp_lt_u32_e64 s1, 12, v58
	s_waitcnt vmcnt(9) lgkmcnt(9)
	v_mul_f64 v[45:46], v[10:11], v[6:7]
	v_mul_f64 v[6:7], v[8:9], v[6:7]
	s_waitcnt vmcnt(8) lgkmcnt(8)
	v_mul_f64 v[95:96], v[59:60], v[14:15]
	s_waitcnt vmcnt(7) lgkmcnt(7)
	;; [unrolled: 2-line block ×3, first 2 shown]
	v_mul_f64 v[99:100], v[67:68], v[23:24]
	v_mul_f64 v[18:19], v[65:66], v[18:19]
	s_waitcnt vmcnt(5) lgkmcnt(5)
	v_mul_f64 v[103:104], v[71:72], v[27:28]
	s_waitcnt vmcnt(4) lgkmcnt(4)
	v_mul_f64 v[105:106], v[75:76], v[31:32]
	v_mul_f64 v[14:15], v[61:62], v[14:15]
	;; [unrolled: 1-line block ×5, first 2 shown]
	s_waitcnt vmcnt(2) lgkmcnt(1)
	v_mul_f64 v[109:110], v[89:90], v[39:40]
	v_mul_f64 v[39:40], v[87:88], v[39:40]
	;; [unrolled: 1-line block ×4, first 2 shown]
	s_waitcnt vmcnt(1)
	v_mul_f64 v[111:112], v[85:86], v[43:44]
	v_mul_f64 v[43:44], v[83:84], v[43:44]
	v_fma_f64 v[45:46], v[8:9], v[4:5], v[45:46]
	v_fma_f64 v[101:102], v[10:11], v[4:5], -v[6:7]
	ds_load_b128 v[4:7], v134
	s_waitcnt vmcnt(0) lgkmcnt(1)
	v_mul_f64 v[113:114], v[93:94], v[53:54]
	v_mul_f64 v[53:54], v[91:92], v[53:54]
	v_fma_f64 v[8:9], v[61:62], v[12:13], -v[95:96]
	v_fma_f64 v[61:62], v[65:66], v[16:17], -v[97:98]
	;; [unrolled: 1-line block ×3, first 2 shown]
	v_fma_f64 v[63:64], v[63:64], v[16:17], v[18:19]
	v_fma_f64 v[73:74], v[73:74], v[25:26], -v[103:104]
	v_fma_f64 v[16:17], v[77:78], v[29:30], -v[105:106]
	v_fma_f64 v[12:13], v[59:60], v[12:13], v[14:15]
	v_fma_f64 v[25:26], v[71:72], v[25:26], v[27:28]
	;; [unrolled: 1-line block ×4, first 2 shown]
	v_fma_f64 v[29:30], v[89:90], v[37:38], -v[39:40]
	v_fma_f64 v[14:15], v[67:68], v[21:22], v[23:24]
	v_fma_f64 v[21:22], v[79:80], v[33:34], v[107:108]
	v_fma_f64 v[23:24], v[81:82], v[33:34], -v[35:36]
	v_fma_f64 v[31:32], v[83:84], v[41:42], v[111:112]
	v_fma_f64 v[33:34], v[85:86], v[41:42], -v[43:44]
	s_waitcnt lgkmcnt(0)
	s_barrier
	buffer_gl0_inv
	v_add_f64 v[65:66], v[4:5], v[45:46]
	v_add_f64 v[69:70], v[6:7], v[101:102]
	v_fma_f64 v[35:36], v[91:92], v[51:52], v[113:114]
	v_fma_f64 v[37:38], v[93:94], v[51:52], -v[53:54]
	v_add_f64 v[39:40], v[101:102], -v[8:9]
	v_add_f64 v[41:42], v[101:102], v[8:9]
	v_add_f64 v[43:44], v[61:62], -v[10:11]
	v_add_f64 v[51:52], v[61:62], v[10:11]
	v_add_f64 v[67:68], v[45:46], v[12:13]
	v_add_f64 v[45:46], v[45:46], -v[12:13]
	v_add_f64 v[71:72], v[25:26], v[18:19]
	v_add_f64 v[75:76], v[25:26], -v[18:19]
	v_add_f64 v[77:78], v[21:22], v[27:28]
	v_add_f64 v[79:80], v[23:24], v[29:30]
	v_add_f64 v[81:82], v[23:24], -v[29:30]
	v_add_f64 v[83:84], v[21:22], -v[27:28]
	v_add_f64 v[53:54], v[65:66], v[63:64]
	v_add_f64 v[59:60], v[69:70], v[61:62]
	v_add_f64 v[61:62], v[73:74], -v[16:17]
	v_add_f64 v[65:66], v[73:74], v[16:17]
	v_add_f64 v[87:88], v[33:34], v[37:38]
	v_mul_f64 v[93:94], v[39:40], s[2:3]
	v_mul_f64 v[95:96], v[41:42], s[6:7]
	;; [unrolled: 1-line block ×10, first 2 shown]
	v_add_f64 v[69:70], v[63:64], v[14:15]
	v_add_f64 v[63:64], v[63:64], -v[14:15]
	v_mul_f64 v[109:110], v[43:44], s[12:13]
	v_mul_f64 v[111:112], v[51:52], s[14:15]
	;; [unrolled: 1-line block ×6, first 2 shown]
	v_add_f64 v[85:86], v[31:32], v[35:36]
	v_add_f64 v[89:90], v[31:32], -v[35:36]
	v_add_f64 v[91:92], v[33:34], -v[37:38]
	v_mul_f64 v[142:143], v[81:82], s[24:25]
	v_mul_f64 v[144:145], v[79:80], s[26:27]
	;; [unrolled: 1-line block ×10, first 2 shown]
	v_add_f64 v[25:26], v[53:54], v[25:26]
	v_add_f64 v[53:54], v[59:60], v[73:74]
	v_mul_f64 v[59:60], v[51:52], s[26:27]
	v_mul_f64 v[73:74], v[43:44], s[36:37]
	;; [unrolled: 1-line block ×6, first 2 shown]
	v_fma_f64 v[174:175], v[67:68], s[14:15], v[97:98]
	v_fma_f64 v[176:177], v[45:46], s[16:17], v[99:100]
	v_fma_f64 v[97:98], v[67:68], s[14:15], -v[97:98]
	v_fma_f64 v[178:179], v[67:68], s[20:21], v[101:102]
	v_fma_f64 v[180:181], v[45:46], s[22:23], v[103:104]
	v_fma_f64 v[101:102], v[67:68], s[20:21], -v[101:102]
	v_fma_f64 v[182:183], v[67:68], s[26:27], v[105:106]
	v_fma_f64 v[184:185], v[45:46], s[28:29], v[107:108]
	v_mul_f64 v[43:44], v[43:44], s[10:11]
	v_mul_f64 v[51:52], v[51:52], s[6:7]
	v_fma_f64 v[105:106], v[67:68], s[26:27], -v[105:106]
	v_fma_f64 v[186:187], v[67:68], s[34:35], v[39:40]
	v_fma_f64 v[188:189], v[45:46], s[36:37], v[41:42]
	v_fma_f64 v[39:40], v[67:68], s[34:35], -v[39:40]
	v_fma_f64 v[41:42], v[45:46], s[30:31], v[41:42]
	v_fma_f64 v[107:108], v[45:46], s[24:25], v[107:108]
	;; [unrolled: 1-line block ×4, first 2 shown]
	v_mul_f64 v[121:122], v[61:62], s[18:19]
	v_mul_f64 v[123:124], v[65:66], s[20:21]
	;; [unrolled: 1-line block ×4, first 2 shown]
	v_fma_f64 v[190:191], v[69:70], s[26:27], v[113:114]
	v_mul_f64 v[129:130], v[61:62], s[16:17]
	v_mul_f64 v[136:137], v[65:66], s[14:15]
	v_fma_f64 v[113:114], v[69:70], s[26:27], -v[113:114]
	v_fma_f64 v[196:197], v[63:64], s[30:31], v[115:116]
	v_mul_f64 v[138:139], v[61:62], s[2:3]
	v_mul_f64 v[140:141], v[65:66], s[6:7]
	v_fma_f64 v[198:199], v[69:70], s[20:21], v[117:118]
	v_add_f64 v[21:22], v[25:26], v[21:22]
	v_add_f64 v[23:24], v[53:54], v[23:24]
	v_mul_f64 v[25:26], v[87:88], s[20:21]
	v_fma_f64 v[53:54], v[67:68], s[6:7], v[93:94]
	v_fma_f64 v[87:88], v[45:46], s[10:11], v[95:96]
	v_fma_f64 v[93:94], v[67:68], s[6:7], -v[93:94]
	v_fma_f64 v[95:96], v[45:46], s[2:3], v[95:96]
	v_fma_f64 v[45:46], v[69:70], s[14:15], v[109:110]
	;; [unrolled: 1-line block ×3, first 2 shown]
	v_fma_f64 v[109:110], v[69:70], s[14:15], -v[109:110]
	v_fma_f64 v[111:112], v[63:64], s[12:13], v[111:112]
	v_fma_f64 v[192:193], v[63:64], s[28:29], v[59:60]
	v_add_f64 v[174:175], v[4:5], v[174:175]
	v_add_f64 v[176:177], v[6:7], v[176:177]
	v_fma_f64 v[194:195], v[69:70], s[34:35], v[73:74]
	v_add_f64 v[97:98], v[4:5], v[97:98]
	v_add_f64 v[178:179], v[4:5], v[178:179]
	;; [unrolled: 1-line block ×3, first 2 shown]
	v_fma_f64 v[73:74], v[69:70], s[34:35], -v[73:74]
	v_fma_f64 v[200:201], v[63:64], s[18:19], v[119:120]
	v_add_f64 v[101:102], v[4:5], v[101:102]
	v_add_f64 v[182:183], v[4:5], v[182:183]
	;; [unrolled: 1-line block ×3, first 2 shown]
	v_mul_f64 v[61:62], v[61:62], s[24:25]
	v_mul_f64 v[65:66], v[65:66], s[26:27]
	v_fma_f64 v[117:118], v[69:70], s[20:21], -v[117:118]
	v_add_f64 v[105:106], v[4:5], v[105:106]
	v_add_f64 v[186:187], v[4:5], v[186:187]
	;; [unrolled: 1-line block ×3, first 2 shown]
	v_fma_f64 v[115:116], v[63:64], s[36:37], v[115:116]
	v_add_f64 v[103:104], v[6:7], v[103:104]
	v_fma_f64 v[59:60], v[63:64], s[24:25], v[59:60]
	v_add_f64 v[99:100], v[6:7], v[99:100]
	v_fma_f64 v[202:203], v[71:72], s[34:35], v[125:126]
	v_fma_f64 v[204:205], v[75:76], s[30:31], v[127:128]
	;; [unrolled: 1-line block ×4, first 2 shown]
	v_fma_f64 v[129:130], v[71:72], s[14:15], -v[129:130]
	v_add_f64 v[21:22], v[21:22], v[31:32]
	v_add_f64 v[23:24], v[23:24], v[33:34]
	v_fma_f64 v[31:32], v[63:64], s[22:23], v[119:120]
	v_add_f64 v[53:54], v[4:5], v[53:54]
	v_fma_f64 v[33:34], v[69:70], s[6:7], v[43:44]
	v_add_f64 v[93:94], v[4:5], v[93:94]
	v_add_f64 v[95:96], v[6:7], v[95:96]
	v_fma_f64 v[119:120], v[63:64], s[2:3], v[51:52]
	v_fma_f64 v[43:44], v[69:70], s[6:7], -v[43:44]
	v_fma_f64 v[51:52], v[63:64], s[10:11], v[51:52]
	v_add_f64 v[4:5], v[4:5], v[39:40]
	v_add_f64 v[39:40], v[6:7], v[41:42]
	;; [unrolled: 1-line block ×4, first 2 shown]
	v_fma_f64 v[63:64], v[71:72], s[20:21], v[121:122]
	v_fma_f64 v[69:70], v[75:76], s[22:23], v[123:124]
	v_fma_f64 v[121:122], v[71:72], s[20:21], -v[121:122]
	v_fma_f64 v[123:124], v[75:76], s[18:19], v[123:124]
	v_add_f64 v[97:98], v[113:114], v[97:98]
	v_add_f64 v[113:114], v[196:197], v[180:181]
	;; [unrolled: 1-line block ×4, first 2 shown]
	v_fma_f64 v[87:88], v[71:72], s[6:7], -v[138:139]
	v_fma_f64 v[107:108], v[75:76], s[2:3], v[140:141]
	v_fma_f64 v[136:137], v[75:76], s[16:17], v[136:137]
	v_fma_f64 v[125:126], v[71:72], s[34:35], -v[125:126]
	v_add_f64 v[105:106], v[117:118], v[105:106]
	v_fma_f64 v[127:128], v[75:76], s[36:37], v[127:128]
	v_mul_f64 v[162:163], v[91:92], s[10:11]
	v_fma_f64 v[210:211], v[77:78], s[20:21], v[146:147]
	v_fma_f64 v[212:213], v[83:84], s[18:19], v[148:149]
	v_mul_f64 v[158:159], v[91:92], s[30:31]
	v_mul_f64 v[166:167], v[91:92], s[24:25]
	;; [unrolled: 1-line block ×4, first 2 shown]
	v_fma_f64 v[146:147], v[77:78], s[20:21], -v[146:147]
	v_fma_f64 v[148:149], v[83:84], s[22:23], v[148:149]
	v_add_f64 v[21:22], v[21:22], v[35:36]
	v_add_f64 v[23:24], v[23:24], v[37:38]
	v_fma_f64 v[35:36], v[71:72], s[6:7], v[138:139]
	v_add_f64 v[45:46], v[45:46], v[53:54]
	v_fma_f64 v[37:38], v[75:76], s[10:11], v[140:141]
	v_add_f64 v[53:54], v[109:110], v[93:94]
	v_add_f64 v[93:94], v[111:112], v[95:96]
	v_add_f64 v[95:96], v[190:191], v[174:175]
	v_add_f64 v[109:110], v[192:193], v[176:177]
	v_add_f64 v[111:112], v[194:195], v[178:179]
	v_add_f64 v[174:175], v[200:201], v[184:185]
	v_fma_f64 v[138:139], v[71:72], s[26:27], v[61:62]
	v_fma_f64 v[140:141], v[75:76], s[28:29], v[65:66]
	v_add_f64 v[33:34], v[33:34], v[186:187]
	v_add_f64 v[117:118], v[119:120], v[188:189]
	v_fma_f64 v[61:62], v[71:72], s[26:27], -v[61:62]
	v_fma_f64 v[65:66], v[75:76], s[24:25], v[65:66]
	v_add_f64 v[4:5], v[43:44], v[4:5]
	v_add_f64 v[39:40], v[51:52], v[39:40]
	;; [unrolled: 1-line block ×6, first 2 shown]
	v_fma_f64 v[71:72], v[77:78], s[26:27], v[142:143]
	v_fma_f64 v[75:76], v[83:84], s[28:29], v[144:145]
	v_fma_f64 v[142:143], v[77:78], s[26:27], -v[142:143]
	v_fma_f64 v[144:145], v[83:84], s[24:25], v[144:145]
	v_fma_f64 v[67:68], v[77:78], s[34:35], v[154:155]
	v_fma_f64 v[99:100], v[83:84], s[36:37], v[156:157]
	v_fma_f64 v[51:52], v[77:78], s[6:7], -v[150:151]
	v_fma_f64 v[103:104], v[77:78], s[34:35], -v[154:155]
	v_fma_f64 v[119:120], v[77:78], s[14:15], v[81:82]
	v_add_f64 v[73:74], v[129:130], v[73:74]
	v_add_f64 v[87:88], v[87:88], v[105:106]
	v_fma_f64 v[115:116], v[83:84], s[30:31], v[156:157]
	v_fma_f64 v[59:60], v[83:84], s[2:3], v[152:153]
	v_add_f64 v[97:98], v[125:126], v[97:98]
	v_fma_f64 v[154:155], v[89:90], s[30:31], v[160:161]
	v_add_f64 v[21:22], v[21:22], v[27:28]
	v_add_f64 v[23:24], v[23:24], v[29:30]
	v_fma_f64 v[27:28], v[77:78], s[6:7], v[150:151]
	v_add_f64 v[45:46], v[63:64], v[45:46]
	v_fma_f64 v[29:30], v[83:84], s[10:11], v[152:153]
	v_add_f64 v[53:54], v[121:122], v[53:54]
	v_add_f64 v[63:64], v[123:124], v[93:94]
	;; [unrolled: 1-line block ×8, first 2 shown]
	v_fma_f64 v[150:151], v[83:84], s[12:13], v[79:80]
	v_add_f64 v[33:34], v[138:139], v[33:34]
	v_add_f64 v[101:102], v[140:141], v[117:118]
	v_fma_f64 v[77:78], v[77:78], s[14:15], -v[81:82]
	v_fma_f64 v[79:80], v[83:84], s[16:17], v[79:80]
	v_add_f64 v[4:5], v[61:62], v[4:5]
	v_add_f64 v[39:40], v[65:66], v[39:40]
	;; [unrolled: 1-line block ×6, first 2 shown]
	v_fma_f64 v[83:84], v[89:90], s[36:37], v[160:161]
	v_fma_f64 v[65:66], v[89:90], s[10:11], v[164:165]
	;; [unrolled: 1-line block ×11, first 2 shown]
	v_add_f64 v[51:52], v[51:52], v[73:74]
	v_fma_f64 v[152:153], v[85:86], s[34:35], -v[158:159]
	v_fma_f64 v[61:62], v[85:86], s[6:7], -v[162:163]
	v_add_f64 v[18:19], v[21:22], v[18:19]
	v_add_f64 v[16:17], v[23:24], v[16:17]
	v_fma_f64 v[21:22], v[85:86], s[6:7], v[162:163]
	v_fma_f64 v[23:24], v[89:90], s[2:3], v[164:165]
	;; [unrolled: 1-line block ×3, first 2 shown]
	v_add_f64 v[25:26], v[71:72], v[45:46]
	v_add_f64 v[45:46], v[142:143], v[53:54]
	;; [unrolled: 1-line block ×12, first 2 shown]
	v_fma_f64 v[107:108], v[85:86], s[26:27], -v[166:167]
	v_fma_f64 v[123:124], v[85:86], s[14:15], -v[170:171]
	;; [unrolled: 1-line block ×3, first 2 shown]
	v_add_f64 v[77:78], v[77:78], v[4:5]
	v_add_f64 v[39:40], v[79:80], v[39:40]
	;; [unrolled: 1-line block ×31, first 2 shown]
	v_cndmask_b32_e64 v8, 0, 0x8f0, s1
	v_lshlrev_b32_e32 v9, 4, v20
	s_delay_alu instid0(VALU_DEP_2) | instskip(NEXT) | instid1(VALU_DEP_1)
	v_add_nc_u32_e32 v8, 0, v8
	v_add3_u32 v8, v8, v9, v135
	ds_store_b128 v8, v[14:17] offset:416
	ds_store_b128 v8, v[25:28] offset:624
	;; [unrolled: 1-line block ×9, first 2 shown]
	ds_store_b128 v8, v[59:62]
	ds_store_b128 v8, v[10:13] offset:208
	s_waitcnt lgkmcnt(0)
	s_barrier
	buffer_gl0_inv
	ds_load_b128 v[12:15], v134
	ds_load_b128 v[16:19], v131 offset:416
	ds_load_b128 v[28:31], v131 offset:2704
	;; [unrolled: 1-line block ×9, first 2 shown]
	s_and_saveexec_b32 s1, s0
	s_cbranch_execz .LBB0_15
; %bb.14:
	ds_load_b128 v[4:7], v131 offset:2080
	ds_load_b128 v[0:3], v131 offset:4368
	v_add_nc_u32_e32 v48, 0x82, v58
.LBB0_15:
	s_or_b32 exec_lo, exec_lo, s1
	v_mov_b32_e32 v59, v50
	v_lshl_add_u32 v49, v132, 4, v133
	s_delay_alu instid0(VALU_DEP_2) | instskip(NEXT) | instid1(VALU_DEP_1)
	v_lshlrev_b64 v[50:51], 4, v[58:59]
	v_add_co_u32 v70, s1, s4, v50
	s_delay_alu instid0(VALU_DEP_1)
	v_add_co_ci_u32_e64 v71, s1, s5, v51, s1
	s_clause 0x4
	global_load_b128 v[52:55], v[70:71], off offset:2080
	global_load_b128 v[58:61], v[70:71], off offset:2496
	;; [unrolled: 1-line block ×5, first 2 shown]
	s_waitcnt vmcnt(0) lgkmcnt(0)
	s_barrier
	buffer_gl0_inv
	v_mul_f64 v[74:75], v[46:47], v[54:55]
	v_mul_f64 v[54:55], v[44:45], v[54:55]
	;; [unrolled: 1-line block ×10, first 2 shown]
	v_fma_f64 v[44:45], v[44:45], v[52:53], v[74:75]
	v_fma_f64 v[46:47], v[46:47], v[52:53], -v[54:55]
	v_fma_f64 v[52:53], v[28:29], v[58:59], v[76:77]
	v_fma_f64 v[54:55], v[30:31], v[58:59], -v[60:61]
	;; [unrolled: 2-line block ×5, first 2 shown]
	v_add_f64 v[28:29], v[12:13], -v[44:45]
	v_add_f64 v[30:31], v[14:15], -v[46:47]
	;; [unrolled: 1-line block ×10, first 2 shown]
	v_fma_f64 v[12:13], v[12:13], 2.0, -v[28:29]
	v_fma_f64 v[14:15], v[14:15], 2.0, -v[30:31]
	v_fma_f64 v[16:17], v[16:17], 2.0, -v[32:33]
	v_fma_f64 v[18:19], v[18:19], 2.0, -v[34:35]
	v_fma_f64 v[24:25], v[24:25], 2.0, -v[36:37]
	v_fma_f64 v[26:27], v[26:27], 2.0, -v[38:39]
	v_fma_f64 v[20:21], v[20:21], 2.0, -v[40:41]
	v_fma_f64 v[22:23], v[22:23], 2.0, -v[42:43]
	v_fma_f64 v[8:9], v[8:9], 2.0, -v[44:45]
	v_fma_f64 v[10:11], v[10:11], 2.0, -v[46:47]
	ds_store_b128 v49, v[32:35] offset:2704
	ds_store_b128 v49, v[36:39] offset:3120
	ds_store_b128 v131, v[12:15]
	ds_store_b128 v131, v[16:19] offset:416
	ds_store_b128 v131, v[24:27] offset:832
	;; [unrolled: 1-line block ×7, first 2 shown]
	s_and_saveexec_b32 s1, s0
	s_cbranch_execz .LBB0_17
; %bb.16:
	v_mov_b32_e32 v49, 0
	s_delay_alu instid0(VALU_DEP_1) | instskip(NEXT) | instid1(VALU_DEP_1)
	v_lshlrev_b64 v[8:9], 4, v[48:49]
	v_add_co_u32 v8, s0, s4, v8
	s_delay_alu instid0(VALU_DEP_1) | instskip(SKIP_4) | instid1(VALU_DEP_2)
	v_add_co_ci_u32_e64 v9, s0, s5, v9, s0
	global_load_b128 v[8:11], v[8:9], off offset:2080
	s_waitcnt vmcnt(0)
	v_mul_f64 v[12:13], v[0:1], v[10:11]
	v_mul_f64 v[10:11], v[2:3], v[10:11]
	v_fma_f64 v[2:3], v[2:3], v[8:9], -v[12:13]
	s_delay_alu instid0(VALU_DEP_2) | instskip(NEXT) | instid1(VALU_DEP_2)
	v_fma_f64 v[0:1], v[0:1], v[8:9], v[10:11]
	v_add_f64 v[2:3], v[6:7], -v[2:3]
	s_delay_alu instid0(VALU_DEP_2) | instskip(NEXT) | instid1(VALU_DEP_2)
	v_add_f64 v[0:1], v[4:5], -v[0:1]
	v_fma_f64 v[6:7], v[6:7], 2.0, -v[2:3]
	s_delay_alu instid0(VALU_DEP_2)
	v_fma_f64 v[4:5], v[4:5], 2.0, -v[0:1]
	ds_store_b128 v131, v[4:7] offset:2080
	ds_store_b128 v131, v[0:3] offset:4368
.LBB0_17:
	s_or_b32 exec_lo, exec_lo, s1
	s_waitcnt lgkmcnt(0)
	s_barrier
	buffer_gl0_inv
	s_and_saveexec_b32 s0, vcc_lo
	s_cbranch_execz .LBB0_19
; %bb.18:
	ds_load_b128 v[0:3], v134
	ds_load_b128 v[4:7], v134 offset:416
	ds_load_b128 v[8:11], v134 offset:832
	;; [unrolled: 1-line block ×10, first 2 shown]
	v_add_co_u32 v44, vcc_lo, s8, v56
	v_add_co_ci_u32_e32 v45, vcc_lo, s9, v57, vcc_lo
	s_delay_alu instid0(VALU_DEP_2) | instskip(NEXT) | instid1(VALU_DEP_2)
	v_add_co_u32 v44, vcc_lo, v44, v50
	v_add_co_ci_u32_e32 v45, vcc_lo, v45, v51, vcc_lo
	s_waitcnt lgkmcnt(10)
	global_store_b128 v[44:45], v[0:3], off
	s_waitcnt lgkmcnt(9)
	global_store_b128 v[44:45], v[4:7], off offset:416
	s_waitcnt lgkmcnt(8)
	global_store_b128 v[44:45], v[8:11], off offset:832
	;; [unrolled: 2-line block ×5, first 2 shown]
	v_add_co_u32 v0, vcc_lo, 0x1000, v44
	v_add_co_ci_u32_e32 v1, vcc_lo, 0, v45, vcc_lo
	s_waitcnt lgkmcnt(4)
	global_store_b128 v[44:45], v[24:27], off offset:2496
	s_waitcnt lgkmcnt(3)
	global_store_b128 v[44:45], v[28:31], off offset:2912
	;; [unrolled: 2-line block ×5, first 2 shown]
.LBB0_19:
	s_nop 0
	s_sendmsg sendmsg(MSG_DEALLOC_VGPRS)
	s_endpgm
	.section	.rodata,"a",@progbits
	.p2align	6, 0x0
	.amdhsa_kernel fft_rtc_back_len286_factors_13_11_2_wgs_52_tpt_26_dp_ip_CI_unitstride_sbrr_dirReg
		.amdhsa_group_segment_fixed_size 0
		.amdhsa_private_segment_fixed_size 0
		.amdhsa_kernarg_size 88
		.amdhsa_user_sgpr_count 15
		.amdhsa_user_sgpr_dispatch_ptr 0
		.amdhsa_user_sgpr_queue_ptr 0
		.amdhsa_user_sgpr_kernarg_segment_ptr 1
		.amdhsa_user_sgpr_dispatch_id 0
		.amdhsa_user_sgpr_private_segment_size 0
		.amdhsa_wavefront_size32 1
		.amdhsa_uses_dynamic_stack 0
		.amdhsa_enable_private_segment 0
		.amdhsa_system_sgpr_workgroup_id_x 1
		.amdhsa_system_sgpr_workgroup_id_y 0
		.amdhsa_system_sgpr_workgroup_id_z 0
		.amdhsa_system_sgpr_workgroup_info 0
		.amdhsa_system_vgpr_workitem_id 0
		.amdhsa_next_free_vgpr 240
		.amdhsa_next_free_sgpr 38
		.amdhsa_reserve_vcc 1
		.amdhsa_float_round_mode_32 0
		.amdhsa_float_round_mode_16_64 0
		.amdhsa_float_denorm_mode_32 3
		.amdhsa_float_denorm_mode_16_64 3
		.amdhsa_dx10_clamp 1
		.amdhsa_ieee_mode 1
		.amdhsa_fp16_overflow 0
		.amdhsa_workgroup_processor_mode 1
		.amdhsa_memory_ordered 1
		.amdhsa_forward_progress 0
		.amdhsa_shared_vgpr_count 0
		.amdhsa_exception_fp_ieee_invalid_op 0
		.amdhsa_exception_fp_denorm_src 0
		.amdhsa_exception_fp_ieee_div_zero 0
		.amdhsa_exception_fp_ieee_overflow 0
		.amdhsa_exception_fp_ieee_underflow 0
		.amdhsa_exception_fp_ieee_inexact 0
		.amdhsa_exception_int_div_zero 0
	.end_amdhsa_kernel
	.text
.Lfunc_end0:
	.size	fft_rtc_back_len286_factors_13_11_2_wgs_52_tpt_26_dp_ip_CI_unitstride_sbrr_dirReg, .Lfunc_end0-fft_rtc_back_len286_factors_13_11_2_wgs_52_tpt_26_dp_ip_CI_unitstride_sbrr_dirReg
                                        ; -- End function
	.section	.AMDGPU.csdata,"",@progbits
; Kernel info:
; codeLenInByte = 10004
; NumSgprs: 40
; NumVgprs: 240
; ScratchSize: 0
; MemoryBound: 0
; FloatMode: 240
; IeeeMode: 1
; LDSByteSize: 0 bytes/workgroup (compile time only)
; SGPRBlocks: 4
; VGPRBlocks: 29
; NumSGPRsForWavesPerEU: 40
; NumVGPRsForWavesPerEU: 240
; Occupancy: 6
; WaveLimiterHint : 1
; COMPUTE_PGM_RSRC2:SCRATCH_EN: 0
; COMPUTE_PGM_RSRC2:USER_SGPR: 15
; COMPUTE_PGM_RSRC2:TRAP_HANDLER: 0
; COMPUTE_PGM_RSRC2:TGID_X_EN: 1
; COMPUTE_PGM_RSRC2:TGID_Y_EN: 0
; COMPUTE_PGM_RSRC2:TGID_Z_EN: 0
; COMPUTE_PGM_RSRC2:TIDIG_COMP_CNT: 0
	.text
	.p2alignl 7, 3214868480
	.fill 96, 4, 3214868480
	.type	__hip_cuid_9c918457f2027bb5,@object ; @__hip_cuid_9c918457f2027bb5
	.section	.bss,"aw",@nobits
	.globl	__hip_cuid_9c918457f2027bb5
__hip_cuid_9c918457f2027bb5:
	.byte	0                               ; 0x0
	.size	__hip_cuid_9c918457f2027bb5, 1

	.ident	"AMD clang version 19.0.0git (https://github.com/RadeonOpenCompute/llvm-project roc-6.4.0 25133 c7fe45cf4b819c5991fe208aaa96edf142730f1d)"
	.section	".note.GNU-stack","",@progbits
	.addrsig
	.addrsig_sym __hip_cuid_9c918457f2027bb5
	.amdgpu_metadata
---
amdhsa.kernels:
  - .args:
      - .actual_access:  read_only
        .address_space:  global
        .offset:         0
        .size:           8
        .value_kind:     global_buffer
      - .offset:         8
        .size:           8
        .value_kind:     by_value
      - .actual_access:  read_only
        .address_space:  global
        .offset:         16
        .size:           8
        .value_kind:     global_buffer
      - .actual_access:  read_only
        .address_space:  global
        .offset:         24
        .size:           8
        .value_kind:     global_buffer
      - .offset:         32
        .size:           8
        .value_kind:     by_value
      - .actual_access:  read_only
        .address_space:  global
        .offset:         40
        .size:           8
        .value_kind:     global_buffer
      - .actual_access:  read_only
        .address_space:  global
        .offset:         48
        .size:           8
        .value_kind:     global_buffer
      - .offset:         56
        .size:           4
        .value_kind:     by_value
      - .actual_access:  read_only
        .address_space:  global
        .offset:         64
        .size:           8
        .value_kind:     global_buffer
      - .actual_access:  read_only
        .address_space:  global
        .offset:         72
        .size:           8
        .value_kind:     global_buffer
      - .address_space:  global
        .offset:         80
        .size:           8
        .value_kind:     global_buffer
    .group_segment_fixed_size: 0
    .kernarg_segment_align: 8
    .kernarg_segment_size: 88
    .language:       OpenCL C
    .language_version:
      - 2
      - 0
    .max_flat_workgroup_size: 52
    .name:           fft_rtc_back_len286_factors_13_11_2_wgs_52_tpt_26_dp_ip_CI_unitstride_sbrr_dirReg
    .private_segment_fixed_size: 0
    .sgpr_count:     40
    .sgpr_spill_count: 0
    .symbol:         fft_rtc_back_len286_factors_13_11_2_wgs_52_tpt_26_dp_ip_CI_unitstride_sbrr_dirReg.kd
    .uniform_work_group_size: 1
    .uses_dynamic_stack: false
    .vgpr_count:     240
    .vgpr_spill_count: 0
    .wavefront_size: 32
    .workgroup_processor_mode: 1
amdhsa.target:   amdgcn-amd-amdhsa--gfx1100
amdhsa.version:
  - 1
  - 2
...

	.end_amdgpu_metadata
